;; amdgpu-corpus repo=ROCm/rocFFT kind=compiled arch=gfx1201 opt=O3
	.text
	.amdgcn_target "amdgcn-amd-amdhsa--gfx1201"
	.amdhsa_code_object_version 6
	.protected	fft_rtc_fwd_len672_factors_2_2_2_2_2_3_7_wgs_56_tpt_56_halfLds_half_op_CI_CI_unitstride_sbrr_R2C_dirReg ; -- Begin function fft_rtc_fwd_len672_factors_2_2_2_2_2_3_7_wgs_56_tpt_56_halfLds_half_op_CI_CI_unitstride_sbrr_R2C_dirReg
	.globl	fft_rtc_fwd_len672_factors_2_2_2_2_2_3_7_wgs_56_tpt_56_halfLds_half_op_CI_CI_unitstride_sbrr_R2C_dirReg
	.p2align	8
	.type	fft_rtc_fwd_len672_factors_2_2_2_2_2_3_7_wgs_56_tpt_56_halfLds_half_op_CI_CI_unitstride_sbrr_R2C_dirReg,@function
fft_rtc_fwd_len672_factors_2_2_2_2_2_3_7_wgs_56_tpt_56_halfLds_half_op_CI_CI_unitstride_sbrr_R2C_dirReg: ; @fft_rtc_fwd_len672_factors_2_2_2_2_2_3_7_wgs_56_tpt_56_halfLds_half_op_CI_CI_unitstride_sbrr_R2C_dirReg
; %bb.0:
	s_clause 0x2
	s_load_b128 s[8:11], s[0:1], 0x0
	s_load_b128 s[4:7], s[0:1], 0x58
	;; [unrolled: 1-line block ×3, first 2 shown]
	v_mul_u32_u24_e32 v1, 0x493, v0
	v_mov_b32_e32 v3, 0
	v_mov_b32_e32 v13, 0
	;; [unrolled: 1-line block ×3, first 2 shown]
	s_delay_alu instid0(VALU_DEP_4) | instskip(NEXT) | instid1(VALU_DEP_1)
	v_lshrrev_b32_e32 v1, 16, v1
	v_dual_mov_b32 v6, v3 :: v_dual_add_nc_u32 v5, ttmp9, v1
	s_wait_kmcnt 0x0
	v_cmp_lt_u64_e64 s2, s[10:11], 2
	s_delay_alu instid0(VALU_DEP_1)
	s_and_b32 vcc_lo, exec_lo, s2
	s_cbranch_vccnz .LBB0_8
; %bb.1:
	s_load_b64 s[2:3], s[0:1], 0x10
	v_mov_b32_e32 v13, 0
	v_mov_b32_e32 v14, 0
	s_delay_alu instid0(VALU_DEP_2)
	v_mov_b32_e32 v1, v13
	s_add_nc_u64 s[16:17], s[14:15], 8
	s_add_nc_u64 s[18:19], s[12:13], 8
	s_mov_b64 s[20:21], 1
	v_mov_b32_e32 v2, v14
	s_wait_kmcnt 0x0
	s_add_nc_u64 s[22:23], s[2:3], 8
	s_mov_b32 s3, 0
.LBB0_2:                                ; =>This Inner Loop Header: Depth=1
	s_load_b64 s[24:25], s[22:23], 0x0
                                        ; implicit-def: $vgpr7_vgpr8
	s_mov_b32 s2, exec_lo
	s_wait_kmcnt 0x0
	v_or_b32_e32 v4, s25, v6
	s_delay_alu instid0(VALU_DEP_1)
	v_cmpx_ne_u64_e32 0, v[3:4]
	s_wait_alu 0xfffe
	s_xor_b32 s26, exec_lo, s2
	s_cbranch_execz .LBB0_4
; %bb.3:                                ;   in Loop: Header=BB0_2 Depth=1
	s_cvt_f32_u32 s2, s24
	s_cvt_f32_u32 s27, s25
	s_sub_nc_u64 s[30:31], 0, s[24:25]
	s_wait_alu 0xfffe
	s_delay_alu instid0(SALU_CYCLE_1) | instskip(SKIP_1) | instid1(SALU_CYCLE_2)
	s_fmamk_f32 s2, s27, 0x4f800000, s2
	s_wait_alu 0xfffe
	v_s_rcp_f32 s2, s2
	s_delay_alu instid0(TRANS32_DEP_1) | instskip(SKIP_1) | instid1(SALU_CYCLE_2)
	s_mul_f32 s2, s2, 0x5f7ffffc
	s_wait_alu 0xfffe
	s_mul_f32 s27, s2, 0x2f800000
	s_wait_alu 0xfffe
	s_delay_alu instid0(SALU_CYCLE_2) | instskip(SKIP_1) | instid1(SALU_CYCLE_2)
	s_trunc_f32 s27, s27
	s_wait_alu 0xfffe
	s_fmamk_f32 s2, s27, 0xcf800000, s2
	s_cvt_u32_f32 s29, s27
	s_wait_alu 0xfffe
	s_delay_alu instid0(SALU_CYCLE_1) | instskip(SKIP_1) | instid1(SALU_CYCLE_2)
	s_cvt_u32_f32 s28, s2
	s_wait_alu 0xfffe
	s_mul_u64 s[34:35], s[30:31], s[28:29]
	s_wait_alu 0xfffe
	s_mul_hi_u32 s37, s28, s35
	s_mul_i32 s36, s28, s35
	s_mul_hi_u32 s2, s28, s34
	s_mul_i32 s33, s29, s34
	s_wait_alu 0xfffe
	s_add_nc_u64 s[36:37], s[2:3], s[36:37]
	s_mul_hi_u32 s27, s29, s34
	s_mul_hi_u32 s38, s29, s35
	s_add_co_u32 s2, s36, s33
	s_wait_alu 0xfffe
	s_add_co_ci_u32 s2, s37, s27
	s_mul_i32 s34, s29, s35
	s_add_co_ci_u32 s35, s38, 0
	s_wait_alu 0xfffe
	s_add_nc_u64 s[34:35], s[2:3], s[34:35]
	s_wait_alu 0xfffe
	v_add_co_u32 v4, s2, s28, s34
	s_delay_alu instid0(VALU_DEP_1) | instskip(SKIP_1) | instid1(VALU_DEP_1)
	s_cmp_lg_u32 s2, 0
	s_add_co_ci_u32 s29, s29, s35
	v_readfirstlane_b32 s28, v4
	s_wait_alu 0xfffe
	s_delay_alu instid0(VALU_DEP_1)
	s_mul_u64 s[30:31], s[30:31], s[28:29]
	s_wait_alu 0xfffe
	s_mul_hi_u32 s35, s28, s31
	s_mul_i32 s34, s28, s31
	s_mul_hi_u32 s2, s28, s30
	s_mul_i32 s33, s29, s30
	s_wait_alu 0xfffe
	s_add_nc_u64 s[34:35], s[2:3], s[34:35]
	s_mul_hi_u32 s27, s29, s30
	s_mul_hi_u32 s28, s29, s31
	s_wait_alu 0xfffe
	s_add_co_u32 s2, s34, s33
	s_add_co_ci_u32 s2, s35, s27
	s_mul_i32 s30, s29, s31
	s_add_co_ci_u32 s31, s28, 0
	s_wait_alu 0xfffe
	s_add_nc_u64 s[30:31], s[2:3], s[30:31]
	s_wait_alu 0xfffe
	v_add_co_u32 v4, s2, v4, s30
	s_delay_alu instid0(VALU_DEP_1) | instskip(SKIP_1) | instid1(VALU_DEP_1)
	s_cmp_lg_u32 s2, 0
	s_add_co_ci_u32 s2, s29, s31
	v_mul_hi_u32 v15, v5, v4
	s_wait_alu 0xfffe
	v_mad_co_u64_u32 v[7:8], null, v5, s2, 0
	v_mad_co_u64_u32 v[9:10], null, v6, v4, 0
	;; [unrolled: 1-line block ×3, first 2 shown]
	s_delay_alu instid0(VALU_DEP_3) | instskip(SKIP_1) | instid1(VALU_DEP_4)
	v_add_co_u32 v4, vcc_lo, v15, v7
	s_wait_alu 0xfffd
	v_add_co_ci_u32_e32 v7, vcc_lo, 0, v8, vcc_lo
	s_delay_alu instid0(VALU_DEP_2) | instskip(SKIP_1) | instid1(VALU_DEP_2)
	v_add_co_u32 v4, vcc_lo, v4, v9
	s_wait_alu 0xfffd
	v_add_co_ci_u32_e32 v4, vcc_lo, v7, v10, vcc_lo
	s_wait_alu 0xfffd
	v_add_co_ci_u32_e32 v7, vcc_lo, 0, v12, vcc_lo
	s_delay_alu instid0(VALU_DEP_2) | instskip(SKIP_1) | instid1(VALU_DEP_2)
	v_add_co_u32 v4, vcc_lo, v4, v11
	s_wait_alu 0xfffd
	v_add_co_ci_u32_e32 v9, vcc_lo, 0, v7, vcc_lo
	s_delay_alu instid0(VALU_DEP_2) | instskip(SKIP_1) | instid1(VALU_DEP_3)
	v_mul_lo_u32 v10, s25, v4
	v_mad_co_u64_u32 v[7:8], null, s24, v4, 0
	v_mul_lo_u32 v11, s24, v9
	s_delay_alu instid0(VALU_DEP_2) | instskip(NEXT) | instid1(VALU_DEP_2)
	v_sub_co_u32 v7, vcc_lo, v5, v7
	v_add3_u32 v8, v8, v11, v10
	s_delay_alu instid0(VALU_DEP_1) | instskip(SKIP_1) | instid1(VALU_DEP_1)
	v_sub_nc_u32_e32 v10, v6, v8
	s_wait_alu 0xfffd
	v_subrev_co_ci_u32_e64 v10, s2, s25, v10, vcc_lo
	v_add_co_u32 v11, s2, v4, 2
	s_wait_alu 0xf1ff
	v_add_co_ci_u32_e64 v12, s2, 0, v9, s2
	v_sub_co_u32 v15, s2, v7, s24
	v_sub_co_ci_u32_e32 v8, vcc_lo, v6, v8, vcc_lo
	s_wait_alu 0xf1ff
	v_subrev_co_ci_u32_e64 v10, s2, 0, v10, s2
	s_delay_alu instid0(VALU_DEP_3) | instskip(NEXT) | instid1(VALU_DEP_3)
	v_cmp_le_u32_e32 vcc_lo, s24, v15
	v_cmp_eq_u32_e64 s2, s25, v8
	s_wait_alu 0xfffd
	v_cndmask_b32_e64 v15, 0, -1, vcc_lo
	v_cmp_le_u32_e32 vcc_lo, s25, v10
	s_wait_alu 0xfffd
	v_cndmask_b32_e64 v16, 0, -1, vcc_lo
	v_cmp_le_u32_e32 vcc_lo, s24, v7
	;; [unrolled: 3-line block ×3, first 2 shown]
	s_wait_alu 0xfffd
	v_cndmask_b32_e64 v17, 0, -1, vcc_lo
	v_cmp_eq_u32_e32 vcc_lo, s25, v10
	s_wait_alu 0xf1ff
	s_delay_alu instid0(VALU_DEP_2)
	v_cndmask_b32_e64 v7, v17, v7, s2
	s_wait_alu 0xfffd
	v_cndmask_b32_e32 v10, v16, v15, vcc_lo
	v_add_co_u32 v15, vcc_lo, v4, 1
	s_wait_alu 0xfffd
	v_add_co_ci_u32_e32 v16, vcc_lo, 0, v9, vcc_lo
	s_delay_alu instid0(VALU_DEP_3) | instskip(SKIP_1) | instid1(VALU_DEP_2)
	v_cmp_ne_u32_e32 vcc_lo, 0, v10
	s_wait_alu 0xfffd
	v_cndmask_b32_e32 v8, v16, v12, vcc_lo
	v_cndmask_b32_e32 v10, v15, v11, vcc_lo
	v_cmp_ne_u32_e32 vcc_lo, 0, v7
	s_wait_alu 0xfffd
	s_delay_alu instid0(VALU_DEP_2)
	v_dual_cndmask_b32 v8, v9, v8 :: v_dual_cndmask_b32 v7, v4, v10
.LBB0_4:                                ;   in Loop: Header=BB0_2 Depth=1
	s_wait_alu 0xfffe
	s_and_not1_saveexec_b32 s2, s26
	s_cbranch_execz .LBB0_6
; %bb.5:                                ;   in Loop: Header=BB0_2 Depth=1
	v_cvt_f32_u32_e32 v4, s24
	s_sub_co_i32 s26, 0, s24
	s_delay_alu instid0(VALU_DEP_1) | instskip(NEXT) | instid1(TRANS32_DEP_1)
	v_rcp_iflag_f32_e32 v4, v4
	v_mul_f32_e32 v4, 0x4f7ffffe, v4
	s_delay_alu instid0(VALU_DEP_1) | instskip(SKIP_1) | instid1(VALU_DEP_1)
	v_cvt_u32_f32_e32 v4, v4
	s_wait_alu 0xfffe
	v_mul_lo_u32 v7, s26, v4
	s_delay_alu instid0(VALU_DEP_1) | instskip(NEXT) | instid1(VALU_DEP_1)
	v_mul_hi_u32 v7, v4, v7
	v_add_nc_u32_e32 v4, v4, v7
	s_delay_alu instid0(VALU_DEP_1) | instskip(NEXT) | instid1(VALU_DEP_1)
	v_mul_hi_u32 v4, v5, v4
	v_mul_lo_u32 v7, v4, s24
	v_add_nc_u32_e32 v8, 1, v4
	s_delay_alu instid0(VALU_DEP_2) | instskip(NEXT) | instid1(VALU_DEP_1)
	v_sub_nc_u32_e32 v7, v5, v7
	v_subrev_nc_u32_e32 v9, s24, v7
	v_cmp_le_u32_e32 vcc_lo, s24, v7
	s_wait_alu 0xfffd
	s_delay_alu instid0(VALU_DEP_2) | instskip(NEXT) | instid1(VALU_DEP_1)
	v_dual_cndmask_b32 v7, v7, v9 :: v_dual_cndmask_b32 v4, v4, v8
	v_cmp_le_u32_e32 vcc_lo, s24, v7
	s_delay_alu instid0(VALU_DEP_2) | instskip(SKIP_1) | instid1(VALU_DEP_1)
	v_add_nc_u32_e32 v8, 1, v4
	s_wait_alu 0xfffd
	v_dual_cndmask_b32 v7, v4, v8 :: v_dual_mov_b32 v8, v3
.LBB0_6:                                ;   in Loop: Header=BB0_2 Depth=1
	s_wait_alu 0xfffe
	s_or_b32 exec_lo, exec_lo, s2
	s_delay_alu instid0(VALU_DEP_1) | instskip(NEXT) | instid1(VALU_DEP_2)
	v_mul_lo_u32 v4, v8, s24
	v_mul_lo_u32 v11, v7, s25
	s_load_b64 s[26:27], s[18:19], 0x0
	v_mad_co_u64_u32 v[9:10], null, v7, s24, 0
	s_load_b64 s[24:25], s[16:17], 0x0
	s_add_nc_u64 s[20:21], s[20:21], 1
	s_add_nc_u64 s[16:17], s[16:17], 8
	s_wait_alu 0xfffe
	v_cmp_ge_u64_e64 s2, s[20:21], s[10:11]
	s_add_nc_u64 s[18:19], s[18:19], 8
	s_add_nc_u64 s[22:23], s[22:23], 8
	v_add3_u32 v4, v10, v11, v4
	v_sub_co_u32 v5, vcc_lo, v5, v9
	s_wait_alu 0xfffd
	s_delay_alu instid0(VALU_DEP_2) | instskip(SKIP_2) | instid1(VALU_DEP_1)
	v_sub_co_ci_u32_e32 v4, vcc_lo, v6, v4, vcc_lo
	s_and_b32 vcc_lo, exec_lo, s2
	s_wait_kmcnt 0x0
	v_mul_lo_u32 v6, s26, v4
	v_mul_lo_u32 v9, s27, v5
	v_mad_co_u64_u32 v[13:14], null, s26, v5, v[13:14]
	v_mul_lo_u32 v4, s24, v4
	v_mul_lo_u32 v10, s25, v5
	v_mad_co_u64_u32 v[1:2], null, s24, v5, v[1:2]
	s_delay_alu instid0(VALU_DEP_4) | instskip(NEXT) | instid1(VALU_DEP_2)
	v_add3_u32 v14, v9, v14, v6
	v_add3_u32 v2, v10, v2, v4
	s_wait_alu 0xfffe
	s_cbranch_vccnz .LBB0_9
; %bb.7:                                ;   in Loop: Header=BB0_2 Depth=1
	v_dual_mov_b32 v5, v7 :: v_dual_mov_b32 v6, v8
	s_branch .LBB0_2
.LBB0_8:
	v_dual_mov_b32 v1, v13 :: v_dual_mov_b32 v2, v14
	v_dual_mov_b32 v8, v6 :: v_dual_mov_b32 v7, v5
.LBB0_9:
	s_load_b64 s[0:1], s[0:1], 0x28
	v_mul_hi_u32 v4, 0x4924925, v0
	s_lshl_b64 s[10:11], s[10:11], 3
                                        ; implicit-def: $vgpr3
                                        ; implicit-def: $vgpr5
                                        ; implicit-def: $vgpr12
                                        ; implicit-def: $vgpr11
                                        ; implicit-def: $vgpr10
                                        ; implicit-def: $vgpr9
	s_wait_kmcnt 0x0
	v_cmp_gt_u64_e32 vcc_lo, s[0:1], v[7:8]
	v_cmp_le_u64_e64 s0, s[0:1], v[7:8]
	s_delay_alu instid0(VALU_DEP_1)
	s_and_saveexec_b32 s1, s0
	s_wait_alu 0xfffe
	s_xor_b32 s0, exec_lo, s1
; %bb.10:
	v_mul_u32_u24_e32 v3, 56, v4
                                        ; implicit-def: $vgpr4
                                        ; implicit-def: $vgpr13_vgpr14
	s_delay_alu instid0(VALU_DEP_1) | instskip(NEXT) | instid1(VALU_DEP_1)
	v_sub_nc_u32_e32 v3, v0, v3
                                        ; implicit-def: $vgpr0
	v_add_nc_u32_e32 v5, 56, v3
	v_add_nc_u32_e32 v12, 0x70, v3
	;; [unrolled: 1-line block ×5, first 2 shown]
; %bb.11:
	s_wait_alu 0xfffe
	s_or_saveexec_b32 s1, s0
	s_add_nc_u64 s[2:3], s[14:15], s[10:11]
	s_wait_alu 0xfffe
	s_xor_b32 exec_lo, exec_lo, s1
	s_cbranch_execz .LBB0_13
; %bb.12:
	s_add_nc_u64 s[10:11], s[12:13], s[10:11]
	s_load_b64 s[10:11], s[10:11], 0x0
	s_wait_kmcnt 0x0
	v_mul_lo_u32 v3, s11, v7
	v_mul_lo_u32 v9, s10, v8
	v_mad_co_u64_u32 v[5:6], null, s10, v7, 0
	s_delay_alu instid0(VALU_DEP_1) | instskip(SKIP_2) | instid1(VALU_DEP_3)
	v_add3_u32 v6, v6, v9, v3
	v_mul_u32_u24_e32 v3, 56, v4
	v_lshlrev_b64_e32 v[9:10], 2, v[13:14]
	v_lshlrev_b64_e32 v[4:5], 2, v[5:6]
	s_delay_alu instid0(VALU_DEP_3) | instskip(NEXT) | instid1(VALU_DEP_1)
	v_sub_nc_u32_e32 v3, v0, v3
	v_lshlrev_b32_e32 v6, 2, v3
	s_delay_alu instid0(VALU_DEP_3) | instskip(SKIP_1) | instid1(VALU_DEP_4)
	v_add_co_u32 v0, s0, s4, v4
	s_wait_alu 0xf1ff
	v_add_co_ci_u32_e64 v4, s0, s5, v5, s0
	v_add_nc_u32_e32 v12, 0x70, v3
	s_delay_alu instid0(VALU_DEP_3) | instskip(SKIP_1) | instid1(VALU_DEP_3)
	v_add_co_u32 v0, s0, v0, v9
	s_wait_alu 0xf1ff
	v_add_co_ci_u32_e64 v5, s0, v4, v10, s0
	v_add_nc_u32_e32 v11, 0xa8, v3
	s_delay_alu instid0(VALU_DEP_3) | instskip(SKIP_1) | instid1(VALU_DEP_3)
	v_add_co_u32 v4, s0, v0, v6
	s_wait_alu 0xf1ff
	v_add_co_ci_u32_e64 v5, s0, 0, v5, s0
	s_clause 0xb
	global_load_b32 v0, v[4:5], off
	global_load_b32 v13, v[4:5], off offset:224
	global_load_b32 v14, v[4:5], off offset:448
	;; [unrolled: 1-line block ×11, first 2 shown]
	v_add_nc_u32_e32 v6, 0, v6
	v_add_nc_u32_e32 v5, 56, v3
	;; [unrolled: 1-line block ×4, first 2 shown]
	s_delay_alu instid0(VALU_DEP_4)
	v_add_nc_u32_e32 v23, 0x200, v6
	v_add_nc_u32_e32 v24, 0x400, v6
	;; [unrolled: 1-line block ×3, first 2 shown]
	s_wait_loadcnt 0xa
	ds_store_2addr_b32 v6, v0, v13 offset1:56
	s_wait_loadcnt 0x8
	ds_store_2addr_b32 v6, v14, v15 offset0:112 offset1:168
	s_wait_loadcnt 0x6
	ds_store_2addr_b32 v23, v16, v17 offset0:96 offset1:152
	;; [unrolled: 2-line block ×5, first 2 shown]
.LBB0_13:
	s_or_b32 exec_lo, exec_lo, s1
	v_lshlrev_b32_e32 v4, 2, v3
	s_load_b64 s[2:3], s[2:3], 0x0
	global_wb scope:SCOPE_SE
	s_wait_dscnt 0x0
	s_wait_kmcnt 0x0
	s_barrier_signal -1
	s_barrier_wait -1
	v_add_nc_u32_e32 v25, 0, v4
	global_inv scope:SCOPE_SE
	v_and_b32_e32 v36, 1, v3
	v_lshl_add_u32 v18, v5, 3, 0
	v_lshl_add_u32 v28, v12, 3, 0
	v_add_nc_u32_e32 v32, 0x200, v25
	v_add_nc_u32_e32 v17, 0x800, v25
	;; [unrolled: 1-line block ×3, first 2 shown]
	v_lshlrev_b32_e32 v6, 2, v36
	v_add_nc_u32_e32 v31, v25, v4
	ds_load_2addr_b32 v[13:14], v32 offset0:96 offset1:152
	ds_load_2addr_b32 v[15:16], v17 offset0:48 offset1:104
	ds_load_2addr_b32 v[19:20], v25 offset1:56
	ds_load_2addr_b32 v[21:22], v33 offset0:80 offset1:136
	ds_load_2addr_b32 v[23:24], v25 offset0:112 offset1:168
	;; [unrolled: 1-line block ×3, first 2 shown]
	v_lshl_add_u32 v27, v11, 3, 0
	v_lshl_add_u32 v26, v10, 3, 0
	;; [unrolled: 1-line block ×3, first 2 shown]
	global_wb scope:SCOPE_SE
	s_wait_dscnt 0x0
	s_barrier_signal -1
	s_barrier_wait -1
	global_inv scope:SCOPE_SE
	v_lshlrev_b32_e32 v34, 2, v5
	v_and_b32_e32 v43, 3, v3
	v_cmp_gt_u32_e64 s0, 40, v3
	s_delay_alu instid0(VALU_DEP_2)
	v_lshlrev_b32_e32 v49, 2, v43
	v_pk_add_f16 v15, v13, v15 neg_lo:[0,1] neg_hi:[0,1]
	v_pk_add_f16 v16, v14, v16 neg_lo:[0,1] neg_hi:[0,1]
	;; [unrolled: 1-line block ×6, first 2 shown]
	v_pk_fma_f16 v13, v13, 2.0, v15 op_sel_hi:[1,0,1] neg_lo:[0,0,1] neg_hi:[0,0,1]
	v_pk_fma_f16 v19, v19, 2.0, v21 op_sel_hi:[1,0,1] neg_lo:[0,0,1] neg_hi:[0,0,1]
	;; [unrolled: 1-line block ×6, first 2 shown]
	ds_store_2addr_b32 v31, v19, v21 offset1:1
	ds_store_2addr_b32 v18, v20, v22 offset1:1
	;; [unrolled: 1-line block ×6, first 2 shown]
	global_wb scope:SCOPE_SE
	s_wait_dscnt 0x0
	s_barrier_signal -1
	s_barrier_wait -1
	global_inv scope:SCOPE_SE
	global_load_b32 v42, v6, s[8:9]
	v_lshlrev_b32_e32 v19, 1, v3
	v_lshlrev_b32_e32 v20, 1, v5
	;; [unrolled: 1-line block ×5, first 2 shown]
	v_and_or_b32 v40, 0x7c, v19, v36
	v_lshlrev_b32_e32 v24, 1, v9
	v_and_or_b32 v44, 0xfc, v20, v36
	v_and_or_b32 v45, 0x1fc, v21, v36
	;; [unrolled: 1-line block ×3, first 2 shown]
	v_lshl_add_u32 v50, v40, 2, 0
	ds_load_2addr_b32 v[40:41], v33 offset0:80 offset1:136
	v_and_or_b32 v47, 0x3fc, v23, v36
	v_and_or_b32 v48, 0x2fc, v24, v36
	ds_load_2addr_b32 v[36:37], v17 offset0:48 offset1:104
	ds_load_2addr_b32 v[38:39], v33 offset0:192 offset1:248
	v_lshlrev_b32_e32 v6, 2, v12
	v_lshlrev_b32_e32 v29, 2, v11
	;; [unrolled: 1-line block ×4, first 2 shown]
	v_sub_nc_u32_e32 v14, v18, v34
	v_sub_nc_u32_e32 v15, v28, v6
	;; [unrolled: 1-line block ×5, first 2 shown]
	ds_load_b32 v51, v25
	ds_load_b32 v52, v14
	;; [unrolled: 1-line block ×6, first 2 shown]
	v_lshl_add_u32 v44, v44, 2, 0
	v_lshl_add_u32 v45, v45, 2, 0
	;; [unrolled: 1-line block ×5, first 2 shown]
	global_wb scope:SCOPE_SE
	s_wait_loadcnt_dscnt 0x0
	s_barrier_signal -1
	s_barrier_wait -1
	global_inv scope:SCOPE_SE
	v_sub_nc_u32_e32 v34, 0, v34
	s_delay_alu instid0(VALU_DEP_1)
	v_add_nc_u32_e32 v34, v18, v34
                                        ; implicit-def: $vgpr18
	v_pk_mul_f16 v62, v42, v40 op_sel:[0,1]
	v_pk_mul_f16 v57, v42, v37 op_sel:[0,1]
	;; [unrolled: 1-line block ×6, first 2 shown]
	v_pk_fma_f16 v64, v42, v40, v62 op_sel:[0,0,1] op_sel_hi:[1,1,0] neg_lo:[0,0,1] neg_hi:[0,0,1]
	v_pk_fma_f16 v40, v42, v40, v62 op_sel:[0,0,1] op_sel_hi:[1,0,0]
	v_pk_fma_f16 v63, v42, v37, v57 op_sel:[0,0,1] op_sel_hi:[1,1,0] neg_lo:[0,0,1] neg_hi:[0,0,1]
	v_pk_fma_f16 v37, v42, v37, v57 op_sel:[0,0,1] op_sel_hi:[1,0,0]
	;; [unrolled: 2-line block ×6, first 2 shown]
	v_bfi_b32 v40, 0xffff, v64, v40
	v_bfi_b32 v39, 0xffff, v58, v39
	;; [unrolled: 1-line block ×6, first 2 shown]
	v_pk_add_f16 v40, v51, v40 neg_lo:[0,1] neg_hi:[0,1]
	v_pk_add_f16 v38, v53, v38 neg_lo:[0,1] neg_hi:[0,1]
	;; [unrolled: 1-line block ×6, first 2 shown]
	v_pk_fma_f16 v51, v51, 2.0, v40 op_sel_hi:[1,0,1] neg_lo:[0,0,1] neg_hi:[0,0,1]
	v_pk_fma_f16 v53, v53, 2.0, v38 op_sel_hi:[1,0,1] neg_lo:[0,0,1] neg_hi:[0,0,1]
	v_pk_fma_f16 v52, v52, 2.0, v41 op_sel_hi:[1,0,1] neg_lo:[0,0,1] neg_hi:[0,0,1]
	v_pk_fma_f16 v54, v54, 2.0, v39 op_sel_hi:[1,0,1] neg_lo:[0,0,1] neg_hi:[0,0,1]
	v_pk_fma_f16 v42, v56, 2.0, v37 op_sel_hi:[1,0,1] neg_lo:[0,0,1] neg_hi:[0,0,1]
	v_pk_fma_f16 v55, v55, 2.0, v36 op_sel_hi:[1,0,1] neg_lo:[0,0,1] neg_hi:[0,0,1]
	ds_store_2addr_b32 v50, v51, v40 offset1:2
	ds_store_2addr_b32 v44, v52, v41 offset1:2
	;; [unrolled: 1-line block ×6, first 2 shown]
	global_wb scope:SCOPE_SE
	s_wait_dscnt 0x0
	s_barrier_signal -1
	s_barrier_wait -1
	global_inv scope:SCOPE_SE
	global_load_b32 v42, v49, s[8:9] offset:8
	v_and_or_b32 v40, 0x78, v19, v43
	ds_load_2addr_b32 v[36:37], v17 offset0:48 offset1:104
	ds_load_2addr_b32 v[38:39], v33 offset0:192 offset1:248
	v_and_b32_e32 v44, 7, v3
	v_and_or_b32 v45, 0xf8, v20, v43
	v_lshl_add_u32 v50, v40, 2, 0
	ds_load_2addr_b32 v[40:41], v33 offset0:80 offset1:136
	ds_load_b32 v51, v25
	ds_load_b32 v52, v14
	;; [unrolled: 1-line block ×6, first 2 shown]
	v_and_or_b32 v46, 0x1f8, v21, v43
	v_and_or_b32 v47, 0x1f8, v22, v43
	;; [unrolled: 1-line block ×4, first 2 shown]
	v_lshlrev_b32_e32 v49, 2, v44
	v_lshl_add_u32 v45, v45, 2, 0
	v_lshl_add_u32 v46, v46, 2, 0
	v_lshl_add_u32 v47, v47, 2, 0
	v_lshl_add_u32 v48, v48, 2, 0
	v_lshl_add_u32 v43, v43, 2, 0
	global_wb scope:SCOPE_SE
	s_wait_loadcnt_dscnt 0x0
	s_barrier_signal -1
	s_barrier_wait -1
	global_inv scope:SCOPE_SE
	v_pk_mul_f16 v62, v42, v40 op_sel:[0,1]
	v_pk_mul_f16 v57, v42, v37 op_sel:[0,1]
	;; [unrolled: 1-line block ×6, first 2 shown]
	v_pk_fma_f16 v64, v42, v40, v62 op_sel:[0,0,1] op_sel_hi:[1,1,0] neg_lo:[0,0,1] neg_hi:[0,0,1]
	v_pk_fma_f16 v40, v42, v40, v62 op_sel:[0,0,1] op_sel_hi:[1,0,0]
	v_pk_fma_f16 v63, v42, v37, v57 op_sel:[0,0,1] op_sel_hi:[1,1,0] neg_lo:[0,0,1] neg_hi:[0,0,1]
	v_pk_fma_f16 v37, v42, v37, v57 op_sel:[0,0,1] op_sel_hi:[1,0,0]
	;; [unrolled: 2-line block ×6, first 2 shown]
	v_bfi_b32 v40, 0xffff, v64, v40
	v_bfi_b32 v39, 0xffff, v58, v39
	;; [unrolled: 1-line block ×6, first 2 shown]
	v_pk_add_f16 v40, v51, v40 neg_lo:[0,1] neg_hi:[0,1]
	v_pk_add_f16 v38, v53, v38 neg_lo:[0,1] neg_hi:[0,1]
	;; [unrolled: 1-line block ×6, first 2 shown]
	v_pk_fma_f16 v51, v51, 2.0, v40 op_sel_hi:[1,0,1] neg_lo:[0,0,1] neg_hi:[0,0,1]
	v_pk_fma_f16 v53, v53, 2.0, v38 op_sel_hi:[1,0,1] neg_lo:[0,0,1] neg_hi:[0,0,1]
	v_pk_fma_f16 v52, v52, 2.0, v41 op_sel_hi:[1,0,1] neg_lo:[0,0,1] neg_hi:[0,0,1]
	v_pk_fma_f16 v54, v54, 2.0, v39 op_sel_hi:[1,0,1] neg_lo:[0,0,1] neg_hi:[0,0,1]
	v_pk_fma_f16 v42, v56, 2.0, v37 op_sel_hi:[1,0,1] neg_lo:[0,0,1] neg_hi:[0,0,1]
	v_pk_fma_f16 v55, v55, 2.0, v36 op_sel_hi:[1,0,1] neg_lo:[0,0,1] neg_hi:[0,0,1]
	ds_store_2addr_b32 v50, v51, v40 offset1:4
	ds_store_2addr_b32 v45, v52, v41 offset1:4
	;; [unrolled: 1-line block ×6, first 2 shown]
	global_wb scope:SCOPE_SE
	s_wait_dscnt 0x0
	s_barrier_signal -1
	s_barrier_wait -1
	global_inv scope:SCOPE_SE
	global_load_b32 v42, v49, s[8:9] offset:24
	v_and_or_b32 v40, 0x70, v19, v44
	ds_load_2addr_b32 v[36:37], v17 offset0:48 offset1:104
	ds_load_2addr_b32 v[38:39], v33 offset0:192 offset1:248
	v_and_b32_e32 v47, 15, v9
	v_and_b32_e32 v43, 15, v3
	v_lshl_add_u32 v56, v40, 2, 0
	ds_load_2addr_b32 v[40:41], v33 offset0:80 offset1:136
	ds_load_b32 v57, v25
	ds_load_b32 v58, v14
	;; [unrolled: 1-line block ×6, first 2 shown]
	v_and_or_b32 v48, 0xf0, v20, v44
	v_and_b32_e32 v46, 15, v11
	v_and_or_b32 v49, 0x1f0, v21, v44
	v_and_b32_e32 v45, 15, v5
	v_and_or_b32 v50, 0x1f0, v22, v44
	v_and_or_b32 v51, 0x3f0, v23, v44
	;; [unrolled: 1-line block ×3, first 2 shown]
	v_lshlrev_b32_e32 v55, 2, v47
	v_lshlrev_b32_e32 v52, 2, v43
	v_lshl_add_u32 v48, v48, 2, 0
	v_lshlrev_b32_e32 v54, 2, v46
	v_lshl_add_u32 v49, v49, 2, 0
	;; [unrolled: 2-line block ×3, first 2 shown]
	v_lshl_add_u32 v51, v51, 2, 0
	v_lshl_add_u32 v44, v44, 2, 0
	global_wb scope:SCOPE_SE
	s_wait_loadcnt_dscnt 0x0
	s_barrier_signal -1
	s_barrier_wait -1
	global_inv scope:SCOPE_SE
	v_and_or_b32 v46, 0x1e0, v22, v46
	v_and_or_b32 v47, 0x2e0, v24, v47
	s_delay_alu instid0(VALU_DEP_2) | instskip(NEXT) | instid1(VALU_DEP_2)
	v_lshl_add_u32 v46, v46, 2, 0
	v_lshl_add_u32 v47, v47, 2, 0
	v_pk_mul_f16 v68, v42, v40 op_sel:[0,1]
	v_pk_mul_f16 v63, v42, v37 op_sel:[0,1]
	;; [unrolled: 1-line block ×6, first 2 shown]
	v_pk_fma_f16 v70, v42, v40, v68 op_sel:[0,0,1] op_sel_hi:[1,1,0] neg_lo:[0,0,1] neg_hi:[0,0,1]
	v_pk_fma_f16 v40, v42, v40, v68 op_sel:[0,0,1] op_sel_hi:[1,0,0]
	v_pk_fma_f16 v69, v42, v37, v63 op_sel:[0,0,1] op_sel_hi:[1,1,0] neg_lo:[0,0,1] neg_hi:[0,0,1]
	v_pk_fma_f16 v37, v42, v37, v63 op_sel:[0,0,1] op_sel_hi:[1,0,0]
	;; [unrolled: 2-line block ×6, first 2 shown]
	v_bfi_b32 v40, 0xffff, v70, v40
	v_bfi_b32 v39, 0xffff, v64, v39
	;; [unrolled: 1-line block ×6, first 2 shown]
	v_pk_add_f16 v40, v57, v40 neg_lo:[0,1] neg_hi:[0,1]
	v_pk_add_f16 v38, v59, v38 neg_lo:[0,1] neg_hi:[0,1]
	;; [unrolled: 1-line block ×6, first 2 shown]
	v_pk_fma_f16 v57, v57, 2.0, v40 op_sel_hi:[1,0,1] neg_lo:[0,0,1] neg_hi:[0,0,1]
	v_pk_fma_f16 v59, v59, 2.0, v38 op_sel_hi:[1,0,1] neg_lo:[0,0,1] neg_hi:[0,0,1]
	;; [unrolled: 1-line block ×6, first 2 shown]
	ds_store_2addr_b32 v56, v57, v40 offset1:8
	ds_store_2addr_b32 v48, v58, v41 offset1:8
	;; [unrolled: 1-line block ×6, first 2 shown]
	global_wb scope:SCOPE_SE
	s_wait_dscnt 0x0
	s_barrier_signal -1
	s_barrier_wait -1
	global_inv scope:SCOPE_SE
	s_clause 0x3
	global_load_b32 v36, v55, s[8:9] offset:56
	global_load_b32 v37, v52, s[8:9] offset:56
	;; [unrolled: 1-line block ×4, first 2 shown]
	v_and_or_b32 v41, 0x60, v19, v43
	v_and_or_b32 v42, 0xe0, v20, v45
	;; [unrolled: 1-line block ×4, first 2 shown]
	ds_load_2addr_b32 v[19:20], v17 offset0:48 offset1:104
	ds_load_2addr_b32 v[21:22], v33 offset0:192 offset1:248
	;; [unrolled: 1-line block ×3, first 2 shown]
	ds_load_b32 v53, v25
	ds_load_b32 v54, v14
	;; [unrolled: 1-line block ×6, first 2 shown]
	v_and_b32_e32 v40, 31, v3
	v_and_b32_e32 v44, 31, v5
	v_and_b32_e32 v48, 31, v12
	v_lshl_add_u32 v41, v41, 2, 0
	v_and_b32_e32 v49, 31, v11
	v_lshlrev_b32_e32 v50, 3, v40
	v_lshl_add_u32 v42, v42, 2, 0
	v_lshl_add_u32 v45, v45, 2, 0
	v_lshlrev_b32_e32 v51, 3, v44
	v_lshl_add_u32 v43, v43, 2, 0
	v_lshlrev_b32_e32 v52, 3, v48
	global_wb scope:SCOPE_SE
	s_wait_loadcnt_dscnt 0x0
	s_barrier_signal -1
	s_barrier_wait -1
	global_inv scope:SCOPE_SE
	v_pk_mul_f16 v58, v36, v20 op_sel:[0,1]
	v_pk_mul_f16 v63, v37, v23 op_sel:[0,1]
	;; [unrolled: 1-line block ×6, first 2 shown]
	v_pk_fma_f16 v64, v36, v20, v58 op_sel:[0,0,1] op_sel_hi:[1,1,0] neg_lo:[0,0,1] neg_hi:[0,0,1]
	v_pk_fma_f16 v20, v36, v20, v58 op_sel:[0,0,1] op_sel_hi:[1,0,0]
	v_pk_fma_f16 v58, v38, v22, v60 op_sel:[0,0,1] op_sel_hi:[1,1,0] neg_lo:[0,0,1] neg_hi:[0,0,1]
	v_pk_fma_f16 v22, v38, v22, v60 op_sel:[0,0,1] op_sel_hi:[1,0,0]
	;; [unrolled: 2-line block ×6, first 2 shown]
	v_bfi_b32 v23, 0xffff, v60, v23
	v_bfi_b32 v22, 0xffff, v58, v22
	;; [unrolled: 1-line block ×6, first 2 shown]
	v_pk_add_f16 v23, v53, v23 neg_lo:[0,1] neg_hi:[0,1]
	v_pk_add_f16 v24, v54, v24 neg_lo:[0,1] neg_hi:[0,1]
	;; [unrolled: 1-line block ×6, first 2 shown]
	v_pk_fma_f16 v36, v53, 2.0, v23 op_sel_hi:[1,0,1] neg_lo:[0,0,1] neg_hi:[0,0,1]
	v_pk_fma_f16 v37, v54, 2.0, v24 op_sel_hi:[1,0,1] neg_lo:[0,0,1] neg_hi:[0,0,1]
	;; [unrolled: 1-line block ×6, first 2 shown]
	ds_store_2addr_b32 v41, v36, v23 offset1:16
	ds_store_2addr_b32 v42, v37, v24 offset1:16
	ds_store_2addr_b32 v45, v38, v21 offset1:16
	ds_store_2addr_b32 v46, v39, v22 offset1:16
	ds_store_2addr_b32 v43, v53, v19 offset1:16
	ds_store_2addr_b32 v47, v35, v20 offset1:16
	global_wb scope:SCOPE_SE
	s_wait_dscnt 0x0
	s_barrier_signal -1
	s_barrier_wait -1
	global_inv scope:SCOPE_SE
	global_load_b64 v[19:20], v50, s[8:9] offset:120
	v_lshlrev_b32_e32 v35, 3, v49
	s_clause 0x2
	global_load_b64 v[21:22], v51, s[8:9] offset:120
	global_load_b64 v[23:24], v52, s[8:9] offset:120
	;; [unrolled: 1-line block ×3, first 2 shown]
	v_lshrrev_b32_e32 v36, 5, v5
	v_lshrrev_b32_e32 v39, 5, v12
	;; [unrolled: 1-line block ×4, first 2 shown]
	v_add_nc_u32_e32 v42, 0x600, v25
	v_mul_lo_u32 v36, 0x60, v36
	v_mul_lo_u32 v43, 0x60, v39
	v_mul_u32_u24_e32 v35, 0x60, v35
	v_mul_lo_u32 v45, 0x60, v41
	s_delay_alu instid0(VALU_DEP_2)
	v_or_b32_e32 v35, v35, v40
	ds_load_b32 v46, v25
	ds_load_2addr_b32 v[39:40], v42 offset0:120 offset1:176
	ds_load_b32 v47, v14
	ds_load_b32 v15, v15
	;; [unrolled: 1-line block ×4, first 2 shown]
	ds_load_2addr_b32 v[41:42], v33 offset0:136 offset1:192
	ds_load_b32 v13, v25 offset:2464
	v_or_b32_e32 v36, v36, v44
	v_or_b32_e32 v48, v43, v48
	ds_load_2addr_b32 v[43:44], v33 offset0:24 offset1:80
	v_or_b32_e32 v45, v45, v49
	v_lshl_add_u32 v49, v35, 2, 0
	v_lshl_add_u32 v50, v36, 2, 0
	;; [unrolled: 1-line block ×3, first 2 shown]
	global_wb scope:SCOPE_SE
	s_wait_loadcnt_dscnt 0x0
	v_lshl_add_u32 v45, v45, 2, 0
	s_barrier_signal -1
	s_barrier_wait -1
	global_inv scope:SCOPE_SE
	v_lshrrev_b32_e32 v51, 16, v46
	v_lshrrev_b32_e32 v59, 16, v39
	;; [unrolled: 1-line block ×20, first 2 shown]
	v_mul_f16_e32 v69, v61, v56
	v_mul_f16_e32 v61, v61, v16
	;; [unrolled: 1-line block ×16, first 2 shown]
	v_fma_f16 v16, v19, v16, -v69
	v_fmac_f16_e32 v61, v19, v56
	v_fma_f16 v19, v20, v42, -v70
	v_fmac_f16_e32 v62, v20, v57
	;; [unrolled: 2-line block ×8, first 2 shown]
	v_add_f16_e32 v38, v16, v19
	v_add_f16_e32 v41, v61, v62
	;; [unrolled: 1-line block ×7, first 2 shown]
	v_sub_f16_e32 v40, v61, v62
	v_add_f16_e32 v39, v51, v61
	v_sub_f16_e32 v42, v16, v19
	v_add_f16_e32 v16, v47, v20
	;; [unrolled: 2-line block ×3, first 2 shown]
	v_add_f16_e32 v55, v15, v22
	v_sub_f16_e32 v57, v65, v66
	v_add_f16_e32 v58, v36, v65
	v_add_f16_e32 v61, v24, v13
	v_sub_f16_e32 v63, v67, v68
	v_add_f16_e32 v65, v35, v67
	v_add_f16_e32 v67, v67, v68
	v_fmac_f16_e32 v46, -0.5, v38
	v_fmac_f16_e32 v51, -0.5, v41
	v_sub_f16_e32 v20, v20, v21
	v_fmac_f16_e32 v47, -0.5, v43
	v_fmac_f16_e32 v52, -0.5, v54
	v_sub_f16_e32 v22, v22, v23
	v_add_f16_e32 v60, v14, v24
	v_fmac_f16_e32 v15, -0.5, v56
	v_fmac_f16_e32 v36, -0.5, v59
	v_sub_f16_e32 v24, v24, v13
	v_add_f16_e32 v19, v37, v19
	v_add_f16_e32 v62, v39, v62
	;; [unrolled: 1-line block ×6, first 2 shown]
	v_fmac_f16_e32 v14, -0.5, v61
	v_fmac_f16_e32 v35, -0.5, v67
	v_fmamk_f16 v53, v40, 0x3aee, v46
	v_fmamk_f16 v54, v42, 0xbaee, v51
	v_fmac_f16_e32 v46, 0xbaee, v40
	v_fmac_f16_e32 v51, 0x3aee, v42
	v_fmamk_f16 v42, v44, 0x3aee, v47
	v_fmac_f16_e32 v47, 0xbaee, v44
	v_fmamk_f16 v44, v20, 0xbaee, v52
	v_fmac_f16_e32 v52, 0x3aee, v20
	v_add_f16_e32 v16, v60, v13
	v_add_f16_e32 v39, v65, v68
	v_fmamk_f16 v37, v57, 0x3aee, v15
	v_fmamk_f16 v38, v22, 0xbaee, v36
	v_fmac_f16_e32 v15, 0xbaee, v57
	v_fmac_f16_e32 v36, 0x3aee, v22
	v_fmamk_f16 v13, v63, 0x3aee, v14
	v_fmac_f16_e32 v14, 0xbaee, v63
	v_fmamk_f16 v40, v24, 0xbaee, v35
	v_fmac_f16_e32 v35, 0x3aee, v24
	v_pack_b32_f16 v19, v19, v62
	v_pack_b32_f16 v20, v21, v41
	;; [unrolled: 1-line block ×12, first 2 shown]
	ds_store_2addr_b32 v49, v19, v23 offset1:32
	ds_store_b32 v49, v24 offset:256
	ds_store_2addr_b32 v50, v20, v41 offset1:32
	ds_store_b32 v50, v42 offset:256
	;; [unrolled: 2-line block ×4, first 2 shown]
	global_wb scope:SCOPE_SE
	s_wait_dscnt 0x0
	s_barrier_signal -1
	s_barrier_wait -1
	global_inv scope:SCOPE_SE
	ds_load_2addr_b32 v[19:20], v25 offset1:96
	ds_load_2addr_b32 v[23:24], v32 offset0:64 offset1:160
	ds_load_2addr_b32 v[21:22], v33 offset0:128 offset1:224
	ds_load_b32 v43, v25 offset:2304
                                        ; implicit-def: $vgpr42
                                        ; implicit-def: $vgpr41
	s_and_saveexec_b32 s1, s0
	s_cbranch_execz .LBB0_15
; %bb.14:
	ds_load_b32 v37, v34
	ds_load_2addr_b32 v[13:14], v33 offset0:88 offset1:184
	ds_load_2addr_b32 v[17:18], v17 offset0:24 offset1:120
	;; [unrolled: 1-line block ×3, first 2 shown]
	ds_load_u16 v39, v25 offset:994
	s_wait_dscnt 0x4
	v_lshrrev_b32_e32 v38, 16, v37
	s_wait_dscnt 0x3
	v_lshrrev_b32_e32 v40, 16, v13
	v_lshrrev_b32_e32 v35, 16, v14
	s_wait_dscnt 0x2
	v_lshrrev_b32_e32 v41, 16, v17
	;; [unrolled: 3-line block ×3, first 2 shown]
.LBB0_15:
	s_wait_alu 0xfffe
	s_or_b32 exec_lo, exec_lo, s1
	v_mul_u32_u24_e32 v44, 6, v3
	s_wait_dscnt 0x0
	v_lshrrev_b32_e32 v50, 16, v43
	v_lshrrev_b32_e32 v51, 16, v22
	;; [unrolled: 1-line block ×4, first 2 shown]
	v_lshlrev_b32_e32 v48, 2, v44
	v_lshrrev_b32_e32 v52, 16, v21
	v_lshrrev_b32_e32 v53, 16, v24
	;; [unrolled: 1-line block ×3, first 2 shown]
	s_clause 0x1
	global_load_b128 v[44:47], v48, s[8:9] offset:376
	global_load_b64 v[48:49], v48, s[8:9] offset:392
	global_wb scope:SCOPE_SE
	s_wait_loadcnt 0x0
	s_barrier_signal -1
	s_barrier_wait -1
	global_inv scope:SCOPE_SE
	v_lshrrev_b32_e32 v57, 16, v44
	v_lshrrev_b32_e32 v58, 16, v45
	v_lshrrev_b32_e32 v61, 16, v48
	v_lshrrev_b32_e32 v62, 16, v49
	v_lshrrev_b32_e32 v59, 16, v46
	v_lshrrev_b32_e32 v60, 16, v47
	v_mul_f16_e32 v63, v57, v55
	v_mul_f16_e32 v57, v57, v20
	;; [unrolled: 1-line block ×12, first 2 shown]
	v_fma_f16 v20, v44, v20, -v63
	v_fmac_f16_e32 v57, v44, v55
	v_fma_f16 v23, v45, v23, -v64
	v_fmac_f16_e32 v58, v45, v54
	v_fma_f16 v43, v49, v43, -v68
	v_fmac_f16_e32 v62, v49, v50
	v_fma_f16 v22, v48, v22, -v67
	v_fmac_f16_e32 v61, v48, v51
	v_fma_f16 v24, v46, v24, -v65
	v_fmac_f16_e32 v59, v46, v53
	v_fma_f16 v21, v47, v21, -v66
	v_fmac_f16_e32 v60, v47, v52
	v_add_f16_e32 v44, v20, v43
	v_add_f16_e32 v45, v57, v62
	;; [unrolled: 1-line block ×4, first 2 shown]
	v_sub_f16_e32 v20, v20, v43
	v_sub_f16_e32 v43, v57, v62
	;; [unrolled: 1-line block ×4, first 2 shown]
	v_add_f16_e32 v48, v24, v21
	v_add_f16_e32 v49, v59, v60
	v_sub_f16_e32 v21, v21, v24
	v_sub_f16_e32 v24, v60, v59
	v_add_f16_e32 v50, v46, v44
	v_add_f16_e32 v51, v47, v45
	v_sub_f16_e32 v52, v46, v44
	v_sub_f16_e32 v53, v47, v45
	;; [unrolled: 1-line block ×6, first 2 shown]
	v_add_f16_e32 v54, v21, v22
	v_add_f16_e32 v55, v24, v23
	v_sub_f16_e32 v57, v21, v22
	v_sub_f16_e32 v58, v24, v23
	;; [unrolled: 1-line block ×4, first 2 shown]
	v_add_f16_e32 v48, v48, v50
	v_add_f16_e32 v49, v49, v51
	v_sub_f16_e32 v21, v20, v21
	v_sub_f16_e32 v24, v43, v24
	v_add_f16_e32 v20, v54, v20
	v_add_f16_e32 v43, v55, v43
	v_mul_f16_e32 v44, 0x3a52, v44
	v_mul_f16_e32 v45, 0x3a52, v45
	v_mul_f16_e32 v50, 0x2b26, v46
	v_mul_f16_e32 v51, 0x2b26, v47
	v_mul_f16_e32 v54, 0xb846, v57
	v_mul_f16_e32 v55, 0xb846, v58
	v_mul_f16_e32 v57, 0x3b00, v22
	v_mul_f16_e32 v58, 0x3b00, v23
	v_add_f16_e32 v19, v48, v19
	v_add_f16_e32 v56, v49, v56
	v_fmamk_f16 v46, v46, 0x2b26, v44
	v_fmamk_f16 v47, v47, 0x2b26, v45
	v_fma_f16 v50, v52, 0x39e0, -v50
	v_fma_f16 v51, v53, 0x39e0, -v51
	;; [unrolled: 1-line block ×4, first 2 shown]
	v_fmamk_f16 v52, v21, 0x3574, v54
	v_fmamk_f16 v53, v24, 0x3574, v55
	v_fma_f16 v22, v22, 0x3b00, -v54
	v_fma_f16 v23, v23, 0x3b00, -v55
	;; [unrolled: 1-line block ×4, first 2 shown]
	v_fmamk_f16 v48, v48, 0xbcab, v19
	v_fmamk_f16 v49, v49, 0xbcab, v56
	v_fmac_f16_e32 v52, 0x370e, v20
	v_fmac_f16_e32 v53, 0x370e, v43
	;; [unrolled: 1-line block ×6, first 2 shown]
	v_add_f16_e32 v20, v46, v48
	v_add_f16_e32 v43, v47, v49
	;; [unrolled: 1-line block ×7, first 2 shown]
	v_sub_f16_e32 v49, v43, v52
	v_add_f16_e32 v50, v24, v44
	v_sub_f16_e32 v51, v45, v21
	v_sub_f16_e32 v54, v46, v23
	v_add_f16_e32 v55, v22, v47
	v_add_f16_e32 v23, v23, v46
	v_sub_f16_e32 v22, v47, v22
	v_sub_f16_e32 v24, v44, v24
	v_add_f16_e32 v21, v21, v45
	v_sub_f16_e32 v20, v20, v53
	v_add_f16_e32 v43, v52, v43
	v_pack_b32_f16 v19, v19, v56
	v_pack_b32_f16 v44, v48, v49
	;; [unrolled: 1-line block ×7, first 2 shown]
	ds_store_2addr_b32 v25, v19, v44 offset1:96
	ds_store_2addr_b32 v32, v45, v46 offset0:64 offset1:160
	ds_store_2addr_b32 v33, v22, v21 offset0:128 offset1:224
	ds_store_b32 v25, v20 offset:2304
	s_and_saveexec_b32 s1, s0
	s_cbranch_execz .LBB0_17
; %bb.16:
	v_subrev_nc_u32_e32 v19, 40, v3
	v_dual_mov_b32 v20, 0 :: v_dual_add_nc_u32 v33, 0x600, v25
	v_add_nc_u32_e32 v32, 0x200, v25
	s_delay_alu instid0(VALU_DEP_3) | instskip(NEXT) | instid1(VALU_DEP_1)
	v_cndmask_b32_e64 v19, v19, v5, s0
	v_mul_i32_i24_e32 v19, 6, v19
	s_delay_alu instid0(VALU_DEP_1) | instskip(NEXT) | instid1(VALU_DEP_1)
	v_lshlrev_b64_e32 v[19:20], 2, v[19:20]
	v_add_co_u32 v23, s0, s8, v19
	s_wait_alu 0xf1ff
	s_delay_alu instid0(VALU_DEP_2)
	v_add_co_ci_u32_e64 v24, s0, s9, v20, s0
	s_clause 0x1
	global_load_b128 v[19:22], v[23:24], off offset:376
	global_load_b64 v[23:24], v[23:24], off offset:392
	s_wait_loadcnt 0x1
	v_lshrrev_b32_e32 v43, 16, v19
	v_lshrrev_b32_e32 v44, 16, v20
	s_wait_loadcnt 0x0
	v_lshrrev_b32_e32 v45, 16, v24
	v_lshrrev_b32_e32 v46, 16, v22
	;; [unrolled: 1-line block ×4, first 2 shown]
	v_mul_f16_e32 v49, v36, v43
	v_mul_f16_e32 v50, v42, v45
	v_mul_f16_e32 v51, v35, v46
	v_mul_f16_e32 v52, v40, v47
	v_mul_f16_e32 v53, v39, v44
	v_mul_f16_e32 v54, v41, v48
	v_mul_f16_e32 v45, v18, v45
	v_mul_f16_e32 v43, v15, v43
	v_mul_f16_e32 v48, v17, v48
	v_mul_f16_e32 v44, v16, v44
	v_mul_f16_e32 v47, v13, v47
	v_mul_f16_e32 v46, v14, v46
	v_fma_f16 v15, v15, v19, -v49
	v_fma_f16 v18, v18, v24, -v50
	;; [unrolled: 1-line block ×6, first 2 shown]
	v_fmac_f16_e32 v45, v42, v24
	v_fmac_f16_e32 v43, v36, v19
	;; [unrolled: 1-line block ×6, first 2 shown]
	v_sub_f16_e32 v19, v15, v18
	v_sub_f16_e32 v20, v14, v13
	v_add_f16_e32 v22, v43, v45
	v_add_f16_e32 v24, v44, v48
	;; [unrolled: 1-line block ×5, first 2 shown]
	v_sub_f16_e32 v21, v16, v17
	v_add_f16_e32 v23, v47, v46
	v_sub_f16_e32 v16, v43, v45
	v_sub_f16_e32 v17, v46, v47
	;; [unrolled: 1-line block ×3, first 2 shown]
	v_add_f16_e32 v41, v24, v22
	v_add_f16_e32 v44, v14, v15
	v_sub_f16_e32 v35, v19, v20
	v_sub_f16_e32 v36, v20, v21
	v_add_f16_e32 v20, v20, v21
	v_sub_f16_e32 v39, v22, v23
	v_sub_f16_e32 v40, v23, v24
	;; [unrolled: 1-line block ×6, first 2 shown]
	v_add_f16_e32 v17, v17, v18
	v_sub_f16_e32 v21, v21, v19
	v_add_f16_e32 v23, v23, v41
	v_add_f16_e32 v13, v13, v44
	v_sub_f16_e32 v14, v14, v15
	v_sub_f16_e32 v15, v18, v16
	;; [unrolled: 1-line block ×3, first 2 shown]
	v_mul_f16_e32 v18, 0xb846, v36
	v_add_f16_e32 v19, v20, v19
	v_mul_f16_e32 v20, 0x3a52, v39
	v_mul_f16_e32 v36, 0x3a52, v42
	;; [unrolled: 1-line block ×3, first 2 shown]
	v_add_f16_e32 v16, v17, v16
	v_mul_f16_e32 v17, 0x3b00, v21
	v_add_f16_e32 v38, v38, v23
	v_add_f16_e32 v37, v37, v13
	v_mul_f16_e32 v24, 0x2b26, v40
	v_mul_f16_e32 v39, 0x2b26, v43
	;; [unrolled: 1-line block ×3, first 2 shown]
	v_fmamk_f16 v44, v35, 0x3574, v18
	v_fmamk_f16 v40, v40, 0x2b26, v20
	;; [unrolled: 1-line block ×4, first 2 shown]
	v_fma_f16 v17, v35, 0xb574, -v17
	v_fma_f16 v20, v22, 0xb9e0, -v20
	;; [unrolled: 1-line block ×3, first 2 shown]
	v_fmamk_f16 v21, v23, 0xbcab, v38
	v_fmamk_f16 v13, v13, 0xbcab, v37
	v_fma_f16 v35, v14, 0xb9e0, -v36
	v_fma_f16 v36, v45, 0xb574, -v42
	;; [unrolled: 1-line block ×5, first 2 shown]
	v_fmac_f16_e32 v44, 0x370e, v19
	v_fmac_f16_e32 v46, 0x370e, v16
	;; [unrolled: 1-line block ×4, first 2 shown]
	v_add_f16_e32 v19, v40, v21
	v_add_f16_e32 v23, v43, v13
	;; [unrolled: 1-line block ×3, first 2 shown]
	v_fmac_f16_e32 v36, 0x370e, v16
	v_fmac_f16_e32 v15, 0x370e, v16
	v_add_f16_e32 v24, v35, v13
	v_add_f16_e32 v21, v22, v21
	v_add_f16_e32 v13, v14, v13
	v_add_f16_e32 v14, v44, v19
	v_add_f16_e32 v35, v17, v20
	v_sub_f16_e32 v17, v20, v17
	v_sub_f16_e32 v19, v19, v44
	v_add_f16_e32 v20, v46, v23
	v_pack_b32_f16 v16, v37, v38
	v_sub_f16_e32 v22, v23, v46
	v_sub_f16_e32 v37, v21, v18
	v_add_f16_e32 v18, v18, v21
	v_add_f16_e32 v21, v36, v24
	v_sub_f16_e32 v23, v13, v15
	v_add_f16_e32 v13, v15, v13
	v_sub_f16_e32 v15, v24, v36
	v_pack_b32_f16 v19, v20, v19
	v_pack_b32_f16 v17, v21, v17
	;; [unrolled: 1-line block ×6, first 2 shown]
	ds_store_2addr_b32 v25, v16, v19 offset0:56 offset1:152
	ds_store_2addr_b32 v32, v17, v18 offset0:120 offset1:216
	;; [unrolled: 1-line block ×3, first 2 shown]
	ds_store_b32 v25, v14 offset:2528
.LBB0_17:
	s_wait_alu 0xfffe
	s_or_b32 exec_lo, exec_lo, s1
	global_wb scope:SCOPE_SE
	s_wait_dscnt 0x0
	s_barrier_signal -1
	s_barrier_wait -1
	global_inv scope:SCOPE_SE
	ds_load_b32 v13, v25
	v_sub_nc_u32_e32 v14, 0, v4
	s_mov_b32 s1, exec_lo
                                        ; implicit-def: $vgpr20
                                        ; implicit-def: $vgpr19
                                        ; implicit-def: $vgpr18
	v_cmpx_ne_u32_e32 0, v3
	s_wait_alu 0xfffe
	s_xor_b32 s1, exec_lo, s1
	s_cbranch_execz .LBB0_19
; %bb.18:
	v_mov_b32_e32 v4, 0
	s_delay_alu instid0(VALU_DEP_1) | instskip(NEXT) | instid1(VALU_DEP_1)
	v_lshlrev_b64_e32 v[15:16], 2, v[3:4]
	v_add_co_u32 v15, s0, s8, v15
	s_wait_alu 0xf1ff
	s_delay_alu instid0(VALU_DEP_2)
	v_add_co_ci_u32_e64 v16, s0, s9, v16, s0
	global_load_b32 v4, v[15:16], off offset:2680
	ds_load_b32 v15, v14 offset:2688
	s_wait_dscnt 0x0
	v_pk_add_f16 v16, v13, v15 neg_lo:[0,1] neg_hi:[0,1]
	v_pk_add_f16 v13, v15, v13
	s_delay_alu instid0(VALU_DEP_1) | instskip(SKIP_1) | instid1(VALU_DEP_2)
	v_bfi_b32 v15, 0xffff, v16, v13
	v_bfi_b32 v13, 0xffff, v13, v16
	v_pk_mul_f16 v15, v15, 0.5 op_sel_hi:[1,0]
	s_delay_alu instid0(VALU_DEP_2) | instskip(SKIP_1) | instid1(VALU_DEP_2)
	v_pk_mul_f16 v17, v13, 0.5 op_sel_hi:[1,0]
	s_wait_loadcnt 0x0
	v_pk_mul_f16 v16, v4, v15 op_sel:[1,0]
	v_pk_mul_f16 v4, v4, v15 op_sel_hi:[0,1]
	s_delay_alu instid0(VALU_DEP_3) | instskip(NEXT) | instid1(VALU_DEP_3)
	v_lshrrev_b32_e32 v15, 16, v17
	v_pk_fma_f16 v13, v13, 0.5, v16 op_sel_hi:[1,0,1]
	v_lshrrev_b32_e32 v18, 16, v16
	v_sub_f16_e32 v16, v17, v16
	v_lshrrev_b32_e32 v17, 16, v4
	s_delay_alu instid0(VALU_DEP_4) | instskip(SKIP_2) | instid1(VALU_DEP_4)
	v_pk_add_f16 v20, v13, v4 op_sel:[0,1] op_sel_hi:[1,0]
	v_pk_add_f16 v13, v13, v4 op_sel:[0,1] op_sel_hi:[1,0] neg_lo:[0,1] neg_hi:[0,1]
	v_sub_f16_e32 v15, v18, v15
	v_sub_f16_e32 v19, v16, v17
	s_delay_alu instid0(VALU_DEP_3) | instskip(NEXT) | instid1(VALU_DEP_3)
	v_bfi_b32 v20, 0xffff, v20, v13
	v_sub_f16_e32 v18, v15, v4
                                        ; implicit-def: $vgpr13
.LBB0_19:
	s_wait_alu 0xfffe
	s_or_saveexec_b32 s0, s1
	v_sub_nc_u32_e32 v17, 0, v6
	v_sub_nc_u32_e32 v16, 0, v29
	;; [unrolled: 1-line block ×4, first 2 shown]
	s_wait_alu 0xfffe
	s_xor_b32 exec_lo, exec_lo, s0
	s_cbranch_execz .LBB0_21
; %bb.20:
	v_mov_b32_e32 v18, 0
	s_wait_dscnt 0x0
	v_alignbit_b32 v19, s0, v13, 16
	v_lshrrev_b32_e32 v20, 16, v13
	ds_load_u16 v6, v18 offset:1346
	v_pk_add_f16 v21, v19, v13
	v_sub_f16_e32 v19, v13, v20
	s_delay_alu instid0(VALU_DEP_2)
	v_pack_b32_f16 v20, v21, 0
	s_wait_dscnt 0x0
	v_xor_b32_e32 v6, 0x8000, v6
	ds_store_b16 v18, v6 offset:1346
.LBB0_21:
	s_or_b32 exec_lo, exec_lo, s0
	v_dual_mov_b32 v6, 0 :: v_dual_add_nc_u32 v17, v28, v17
	v_add_nc_u32_e32 v0, v0, v4
	s_delay_alu instid0(VALU_DEP_2) | instskip(SKIP_2) | instid1(VALU_DEP_1)
	v_lshlrev_b64_e32 v[21:22], 2, v[5:6]
	s_wait_dscnt 0x0
	v_mov_b32_e32 v13, v6
	v_lshlrev_b64_e32 v[12:13], 2, v[12:13]
	s_delay_alu instid0(VALU_DEP_3) | instskip(SKIP_2) | instid1(VALU_DEP_3)
	v_add_co_u32 v21, s0, s8, v21
	s_wait_alu 0xf1ff
	v_add_co_ci_u32_e64 v22, s0, s9, v22, s0
	v_add_co_u32 v12, s0, s8, v12
	global_load_b32 v5, v[21:22], off offset:2680
	s_wait_alu 0xf1ff
	v_add_co_ci_u32_e64 v13, s0, s9, v13, s0
	global_load_b32 v13, v[12:13], off offset:2680
	v_mov_b32_e32 v12, v6
	s_delay_alu instid0(VALU_DEP_1) | instskip(NEXT) | instid1(VALU_DEP_1)
	v_lshlrev_b64_e32 v[11:12], 2, v[11:12]
	v_add_co_u32 v11, s0, s8, v11
	s_wait_alu 0xf1ff
	s_delay_alu instid0(VALU_DEP_2) | instskip(SKIP_2) | instid1(VALU_DEP_1)
	v_add_co_ci_u32_e64 v12, s0, s9, v12, s0
	global_load_b32 v12, v[11:12], off offset:2680
	v_mov_b32_e32 v11, v6
	v_lshlrev_b64_e32 v[10:11], 2, v[10:11]
	s_delay_alu instid0(VALU_DEP_1) | instskip(SKIP_1) | instid1(VALU_DEP_2)
	v_add_co_u32 v10, s0, s8, v10
	s_wait_alu 0xf1ff
	v_add_co_ci_u32_e64 v11, s0, s9, v11, s0
	global_load_b32 v11, v[10:11], off offset:2680
	v_mov_b32_e32 v10, v6
	s_delay_alu instid0(VALU_DEP_1) | instskip(NEXT) | instid1(VALU_DEP_1)
	v_lshlrev_b64_e32 v[9:10], 2, v[9:10]
	v_add_co_u32 v9, s0, s8, v9
	s_wait_alu 0xf1ff
	s_delay_alu instid0(VALU_DEP_2)
	v_add_co_ci_u32_e64 v10, s0, s9, v10, s0
	global_load_b32 v9, v[9:10], off offset:2680
	ds_store_b16 v14, v18 offset:2690
	ds_store_b32 v25, v20
	ds_store_b16 v14, v19 offset:2688
	ds_load_b32 v10, v34
	ds_load_b32 v18, v14 offset:2464
	s_wait_dscnt 0x0
	v_pk_add_f16 v19, v10, v18 neg_lo:[0,1] neg_hi:[0,1]
	v_pk_add_f16 v10, v10, v18
	s_delay_alu instid0(VALU_DEP_1) | instskip(SKIP_1) | instid1(VALU_DEP_2)
	v_bfi_b32 v18, 0xffff, v19, v10
	v_bfi_b32 v10, 0xffff, v10, v19
	v_pk_mul_f16 v18, v18, 0.5 op_sel_hi:[1,0]
	s_delay_alu instid0(VALU_DEP_2) | instskip(SKIP_1) | instid1(VALU_DEP_1)
	v_pk_mul_f16 v10, v10, 0.5 op_sel_hi:[1,0]
	s_wait_loadcnt 0x4
	v_pk_fma_f16 v19, v5, v18, v10 op_sel:[1,0,0]
	v_pk_mul_f16 v20, v5, v18 op_sel_hi:[0,1]
	v_pk_fma_f16 v21, v5, v18, v10 op_sel:[1,0,0] neg_lo:[1,0,0] neg_hi:[1,0,0]
	v_pk_fma_f16 v5, v5, v18, v10 op_sel:[1,0,0] neg_lo:[0,0,1] neg_hi:[0,0,1]
	s_delay_alu instid0(VALU_DEP_3) | instskip(SKIP_1) | instid1(VALU_DEP_4)
	v_pk_add_f16 v10, v19, v20 op_sel:[0,1] op_sel_hi:[1,0]
	v_pk_add_f16 v18, v19, v20 op_sel:[0,1] op_sel_hi:[1,0] neg_lo:[0,1] neg_hi:[0,1]
	v_pk_add_f16 v19, v21, v20 op_sel:[0,1] op_sel_hi:[1,0] neg_lo:[0,1] neg_hi:[0,1]
	s_delay_alu instid0(VALU_DEP_4) | instskip(NEXT) | instid1(VALU_DEP_3)
	v_pk_add_f16 v5, v5, v20 op_sel:[0,1] op_sel_hi:[1,0] neg_lo:[0,1] neg_hi:[0,1]
	v_bfi_b32 v10, 0xffff, v10, v18
	s_delay_alu instid0(VALU_DEP_2)
	v_bfi_b32 v5, 0xffff, v19, v5
	ds_store_b32 v34, v10
	ds_store_b32 v14, v5 offset:2464
	ds_load_b32 v5, v17
	ds_load_b32 v10, v14 offset:2240
	s_wait_dscnt 0x0
	v_pk_add_f16 v18, v5, v10 neg_lo:[0,1] neg_hi:[0,1]
	v_pk_add_f16 v5, v5, v10
	s_delay_alu instid0(VALU_DEP_1) | instskip(SKIP_1) | instid1(VALU_DEP_2)
	v_bfi_b32 v10, 0xffff, v18, v5
	v_bfi_b32 v5, 0xffff, v5, v18
	v_pk_mul_f16 v10, v10, 0.5 op_sel_hi:[1,0]
	s_delay_alu instid0(VALU_DEP_2) | instskip(SKIP_1) | instid1(VALU_DEP_2)
	v_pk_mul_f16 v5, v5, 0.5 op_sel_hi:[1,0]
	s_wait_loadcnt 0x3
	v_pk_mul_f16 v19, v13, v10 op_sel_hi:[0,1]
	s_delay_alu instid0(VALU_DEP_2) | instskip(SKIP_2) | instid1(VALU_DEP_3)
	v_pk_fma_f16 v18, v13, v10, v5 op_sel:[1,0,0]
	v_pk_fma_f16 v20, v13, v10, v5 op_sel:[1,0,0] neg_lo:[1,0,0] neg_hi:[1,0,0]
	v_pk_fma_f16 v5, v13, v10, v5 op_sel:[1,0,0] neg_lo:[0,0,1] neg_hi:[0,0,1]
	v_pk_add_f16 v10, v18, v19 op_sel:[0,1] op_sel_hi:[1,0]
	v_pk_add_f16 v13, v18, v19 op_sel:[0,1] op_sel_hi:[1,0] neg_lo:[0,1] neg_hi:[0,1]
	s_delay_alu instid0(VALU_DEP_4) | instskip(NEXT) | instid1(VALU_DEP_4)
	v_pk_add_f16 v18, v20, v19 op_sel:[0,1] op_sel_hi:[1,0] neg_lo:[0,1] neg_hi:[0,1]
	v_pk_add_f16 v5, v5, v19 op_sel:[0,1] op_sel_hi:[1,0] neg_lo:[0,1] neg_hi:[0,1]
	s_delay_alu instid0(VALU_DEP_3) | instskip(SKIP_1) | instid1(VALU_DEP_3)
	v_bfi_b32 v10, 0xffff, v10, v13
	v_add_nc_u32_e32 v13, v27, v16
	v_bfi_b32 v5, 0xffff, v18, v5
	ds_store_b32 v17, v10
	ds_store_b32 v14, v5 offset:2240
	ds_load_b32 v5, v13
	ds_load_b32 v10, v14 offset:2016
	s_wait_dscnt 0x0
	v_pk_add_f16 v16, v5, v10 neg_lo:[0,1] neg_hi:[0,1]
	v_pk_add_f16 v5, v5, v10
	s_delay_alu instid0(VALU_DEP_1) | instskip(SKIP_1) | instid1(VALU_DEP_2)
	v_bfi_b32 v10, 0xffff, v16, v5
	v_bfi_b32 v5, 0xffff, v5, v16
	v_pk_mul_f16 v10, v10, 0.5 op_sel_hi:[1,0]
	s_delay_alu instid0(VALU_DEP_2) | instskip(SKIP_1) | instid1(VALU_DEP_2)
	v_pk_mul_f16 v5, v5, 0.5 op_sel_hi:[1,0]
	s_wait_loadcnt 0x2
	v_pk_mul_f16 v17, v12, v10 op_sel_hi:[0,1]
	s_delay_alu instid0(VALU_DEP_2) | instskip(SKIP_2) | instid1(VALU_DEP_3)
	v_pk_fma_f16 v16, v12, v10, v5 op_sel:[1,0,0]
	v_pk_fma_f16 v18, v12, v10, v5 op_sel:[1,0,0] neg_lo:[1,0,0] neg_hi:[1,0,0]
	v_pk_fma_f16 v5, v12, v10, v5 op_sel:[1,0,0] neg_lo:[0,0,1] neg_hi:[0,0,1]
	v_pk_add_f16 v10, v16, v17 op_sel:[0,1] op_sel_hi:[1,0]
	v_pk_add_f16 v12, v16, v17 op_sel:[0,1] op_sel_hi:[1,0] neg_lo:[0,1] neg_hi:[0,1]
	s_delay_alu instid0(VALU_DEP_4) | instskip(NEXT) | instid1(VALU_DEP_4)
	v_pk_add_f16 v16, v18, v17 op_sel:[0,1] op_sel_hi:[1,0] neg_lo:[0,1] neg_hi:[0,1]
	v_pk_add_f16 v5, v5, v17 op_sel:[0,1] op_sel_hi:[1,0] neg_lo:[0,1] neg_hi:[0,1]
	s_delay_alu instid0(VALU_DEP_3) | instskip(SKIP_1) | instid1(VALU_DEP_3)
	v_bfi_b32 v10, 0xffff, v10, v12
	v_add_nc_u32_e32 v12, v26, v15
	v_bfi_b32 v5, 0xffff, v16, v5
	ds_store_b32 v13, v10
	ds_store_b32 v14, v5 offset:2016
	ds_load_b32 v5, v12
	ds_load_b32 v10, v14 offset:1792
	s_wait_dscnt 0x0
	v_pk_add_f16 v13, v5, v10 neg_lo:[0,1] neg_hi:[0,1]
	v_pk_add_f16 v5, v5, v10
	s_delay_alu instid0(VALU_DEP_1) | instskip(SKIP_1) | instid1(VALU_DEP_2)
	v_bfi_b32 v10, 0xffff, v13, v5
	v_bfi_b32 v5, 0xffff, v5, v13
	v_pk_mul_f16 v10, v10, 0.5 op_sel_hi:[1,0]
	s_delay_alu instid0(VALU_DEP_2) | instskip(SKIP_1) | instid1(VALU_DEP_2)
	v_pk_mul_f16 v5, v5, 0.5 op_sel_hi:[1,0]
	s_wait_loadcnt 0x1
	v_pk_mul_f16 v15, v11, v10 op_sel_hi:[0,1]
	s_delay_alu instid0(VALU_DEP_2) | instskip(SKIP_2) | instid1(VALU_DEP_3)
	v_pk_fma_f16 v13, v11, v10, v5 op_sel:[1,0,0]
	v_pk_fma_f16 v16, v11, v10, v5 op_sel:[1,0,0] neg_lo:[1,0,0] neg_hi:[1,0,0]
	v_pk_fma_f16 v5, v11, v10, v5 op_sel:[1,0,0] neg_lo:[0,0,1] neg_hi:[0,0,1]
	v_pk_add_f16 v10, v13, v15 op_sel:[0,1] op_sel_hi:[1,0]
	v_pk_add_f16 v11, v13, v15 op_sel:[0,1] op_sel_hi:[1,0] neg_lo:[0,1] neg_hi:[0,1]
	s_delay_alu instid0(VALU_DEP_4) | instskip(NEXT) | instid1(VALU_DEP_4)
	v_pk_add_f16 v13, v16, v15 op_sel:[0,1] op_sel_hi:[1,0] neg_lo:[0,1] neg_hi:[0,1]
	v_pk_add_f16 v5, v5, v15 op_sel:[0,1] op_sel_hi:[1,0] neg_lo:[0,1] neg_hi:[0,1]
	s_delay_alu instid0(VALU_DEP_3) | instskip(NEXT) | instid1(VALU_DEP_2)
	v_bfi_b32 v10, 0xffff, v10, v11
	v_bfi_b32 v5, 0xffff, v13, v5
	ds_store_b32 v12, v10
	ds_store_b32 v14, v5 offset:1792
	ds_load_b32 v4, v0
	ds_load_b32 v5, v14 offset:1568
	s_wait_dscnt 0x0
	v_pk_add_f16 v10, v4, v5 neg_lo:[0,1] neg_hi:[0,1]
	v_pk_add_f16 v4, v4, v5
	s_delay_alu instid0(VALU_DEP_1) | instskip(SKIP_1) | instid1(VALU_DEP_2)
	v_bfi_b32 v5, 0xffff, v10, v4
	v_bfi_b32 v4, 0xffff, v4, v10
	v_pk_mul_f16 v5, v5, 0.5 op_sel_hi:[1,0]
	s_delay_alu instid0(VALU_DEP_2) | instskip(SKIP_1) | instid1(VALU_DEP_2)
	v_pk_mul_f16 v4, v4, 0.5 op_sel_hi:[1,0]
	s_wait_loadcnt 0x0
	v_pk_mul_f16 v11, v9, v5 op_sel_hi:[0,1]
	s_delay_alu instid0(VALU_DEP_2) | instskip(SKIP_2) | instid1(VALU_DEP_3)
	v_pk_fma_f16 v10, v9, v5, v4 op_sel:[1,0,0]
	v_pk_fma_f16 v12, v9, v5, v4 op_sel:[1,0,0] neg_lo:[1,0,0] neg_hi:[1,0,0]
	v_pk_fma_f16 v4, v9, v5, v4 op_sel:[1,0,0] neg_lo:[0,0,1] neg_hi:[0,0,1]
	v_pk_add_f16 v5, v10, v11 op_sel:[0,1] op_sel_hi:[1,0]
	v_pk_add_f16 v9, v10, v11 op_sel:[0,1] op_sel_hi:[1,0] neg_lo:[0,1] neg_hi:[0,1]
	s_delay_alu instid0(VALU_DEP_4) | instskip(NEXT) | instid1(VALU_DEP_4)
	v_pk_add_f16 v10, v12, v11 op_sel:[0,1] op_sel_hi:[1,0] neg_lo:[0,1] neg_hi:[0,1]
	v_pk_add_f16 v4, v4, v11 op_sel:[0,1] op_sel_hi:[1,0] neg_lo:[0,1] neg_hi:[0,1]
	s_delay_alu instid0(VALU_DEP_3) | instskip(NEXT) | instid1(VALU_DEP_2)
	v_bfi_b32 v5, 0xffff, v5, v9
	v_bfi_b32 v4, 0xffff, v10, v4
	ds_store_b32 v0, v5
	ds_store_b32 v14, v4 offset:1568
	global_wb scope:SCOPE_SE
	s_wait_dscnt 0x0
	s_barrier_signal -1
	s_barrier_wait -1
	global_inv scope:SCOPE_SE
	s_and_saveexec_b32 s0, vcc_lo
	s_cbranch_execz .LBB0_24
; %bb.22:
	v_mul_lo_u32 v0, s3, v7
	v_mul_lo_u32 v4, s2, v8
	v_mad_co_u64_u32 v[7:8], null, s2, v7, 0
	v_lshl_add_u32 v33, v3, 2, 0
	v_add_nc_u32_e32 v5, 56, v3
	ds_load_2addr_b32 v[9:10], v33 offset1:56
	v_add3_u32 v8, v8, v4, v0
	v_mov_b32_e32 v4, v6
	v_lshlrev_b64_e32 v[0:1], 2, v[1:2]
	v_lshlrev_b64_e32 v[13:14], 2, v[5:6]
	v_add_nc_u32_e32 v5, 0x70, v3
	v_lshlrev_b64_e32 v[7:8], 2, v[7:8]
	v_lshlrev_b64_e32 v[11:12], 2, v[3:4]
	ds_load_2addr_b32 v[15:16], v33 offset0:112 offset1:168
	v_add_co_u32 v2, vcc_lo, s6, v7
	s_wait_alu 0xfffd
	v_add_co_ci_u32_e32 v4, vcc_lo, s7, v8, vcc_lo
	v_lshlrev_b64_e32 v[7:8], 2, v[5:6]
	v_add_nc_u32_e32 v5, 0xa8, v3
	v_add_co_u32 v0, vcc_lo, v2, v0
	s_wait_alu 0xfffd
	v_add_co_ci_u32_e32 v1, vcc_lo, v4, v1, vcc_lo
	s_delay_alu instid0(VALU_DEP_3)
	v_lshlrev_b64_e32 v[17:18], 2, v[5:6]
	v_add_nc_u32_e32 v5, 0xe0, v3
	v_add_nc_u32_e32 v2, 0x200, v33
	v_add_co_u32 v11, vcc_lo, v0, v11
	s_wait_alu 0xfffd
	v_add_co_ci_u32_e32 v12, vcc_lo, v1, v12, vcc_lo
	v_lshlrev_b64_e32 v[19:20], 2, v[5:6]
	v_add_nc_u32_e32 v5, 0x118, v3
	v_add_co_u32 v13, vcc_lo, v0, v13
	ds_load_2addr_b32 v[21:22], v2 offset0:96 offset1:152
	v_add_nc_u32_e32 v2, 0x400, v33
	v_lshlrev_b64_e32 v[23:24], 2, v[5:6]
	v_add_nc_u32_e32 v5, 0x150, v3
	s_wait_alu 0xfffd
	v_add_co_ci_u32_e32 v14, vcc_lo, v1, v14, vcc_lo
	v_add_co_u32 v7, vcc_lo, v0, v7
	s_wait_alu 0xfffd
	v_add_co_ci_u32_e32 v8, vcc_lo, v1, v8, vcc_lo
	v_lshlrev_b64_e32 v[25:26], 2, v[5:6]
	v_add_nc_u32_e32 v5, 0x188, v3
	v_add_co_u32 v17, vcc_lo, v0, v17
	ds_load_2addr_b32 v[27:28], v2 offset0:80 offset1:136
	s_wait_alu 0xfffd
	v_add_co_ci_u32_e32 v18, vcc_lo, v1, v18, vcc_lo
	v_add_co_u32 v19, vcc_lo, v0, v19
	v_lshlrev_b64_e32 v[29:30], 2, v[5:6]
	v_add_nc_u32_e32 v5, 0x1c0, v3
	s_wait_alu 0xfffd
	v_add_co_ci_u32_e32 v20, vcc_lo, v1, v20, vcc_lo
	v_add_co_u32 v23, vcc_lo, v0, v23
	s_wait_alu 0xfffd
	v_add_co_ci_u32_e32 v24, vcc_lo, v1, v24, vcc_lo
	v_add_co_u32 v25, vcc_lo, v0, v25
	v_lshlrev_b64_e32 v[31:32], 2, v[5:6]
	v_add_nc_u32_e32 v5, 0x1f8, v3
	s_wait_alu 0xfffd
	v_add_co_ci_u32_e32 v26, vcc_lo, v1, v26, vcc_lo
	v_add_co_u32 v29, vcc_lo, v0, v29
	s_wait_alu 0xfffd
	v_add_co_ci_u32_e32 v30, vcc_lo, v1, v30, vcc_lo
	s_wait_dscnt 0x3
	s_clause 0x1
	global_store_b32 v[11:12], v9, off
	global_store_b32 v[13:14], v10, off
	s_wait_dscnt 0x2
	s_clause 0x1
	global_store_b32 v[7:8], v15, off
	global_store_b32 v[17:18], v16, off
	;; [unrolled: 4-line block ×4, first 2 shown]
	v_lshlrev_b64_e32 v[9:10], 2, v[5:6]
	v_add_nc_u32_e32 v5, 0x230, v3
	v_add_nc_u32_e32 v4, 0x800, v33
	ds_load_2addr_b32 v[7:8], v2 offset0:192 offset1:248
	v_add_co_u32 v13, vcc_lo, v0, v31
	v_lshlrev_b64_e32 v[15:16], 2, v[5:6]
	v_add_nc_u32_e32 v5, 0x268, v3
	ds_load_2addr_b32 v[11:12], v4 offset0:48 offset1:104
	s_wait_alu 0xfffd
	v_add_co_ci_u32_e32 v14, vcc_lo, v1, v32, vcc_lo
	v_add_co_u32 v9, vcc_lo, v0, v9
	v_lshlrev_b64_e32 v[4:5], 2, v[5:6]
	s_wait_alu 0xfffd
	v_add_co_ci_u32_e32 v10, vcc_lo, v1, v10, vcc_lo
	v_add_co_u32 v15, vcc_lo, v0, v15
	s_wait_alu 0xfffd
	v_add_co_ci_u32_e32 v16, vcc_lo, v1, v16, vcc_lo
	v_add_co_u32 v4, vcc_lo, v0, v4
	s_wait_alu 0xfffd
	v_add_co_ci_u32_e32 v5, vcc_lo, v1, v5, vcc_lo
	v_cmp_eq_u32_e32 vcc_lo, 55, v3
	s_wait_dscnt 0x1
	s_clause 0x1
	global_store_b32 v[13:14], v7, off
	global_store_b32 v[9:10], v8, off
	s_wait_dscnt 0x0
	s_clause 0x1
	global_store_b32 v[15:16], v11, off
	global_store_b32 v[4:5], v12, off
	s_and_b32 exec_lo, exec_lo, vcc_lo
	s_cbranch_execz .LBB0_24
; %bb.23:
	v_mov_b32_e32 v2, 0
	ds_load_b32 v2, v2 offset:2688
	s_wait_dscnt 0x0
	global_store_b32 v[0:1], v2, off offset:2688
.LBB0_24:
	s_nop 0
	s_sendmsg sendmsg(MSG_DEALLOC_VGPRS)
	s_endpgm
	.section	.rodata,"a",@progbits
	.p2align	6, 0x0
	.amdhsa_kernel fft_rtc_fwd_len672_factors_2_2_2_2_2_3_7_wgs_56_tpt_56_halfLds_half_op_CI_CI_unitstride_sbrr_R2C_dirReg
		.amdhsa_group_segment_fixed_size 0
		.amdhsa_private_segment_fixed_size 0
		.amdhsa_kernarg_size 104
		.amdhsa_user_sgpr_count 2
		.amdhsa_user_sgpr_dispatch_ptr 0
		.amdhsa_user_sgpr_queue_ptr 0
		.amdhsa_user_sgpr_kernarg_segment_ptr 1
		.amdhsa_user_sgpr_dispatch_id 0
		.amdhsa_user_sgpr_private_segment_size 0
		.amdhsa_wavefront_size32 1
		.amdhsa_uses_dynamic_stack 0
		.amdhsa_enable_private_segment 0
		.amdhsa_system_sgpr_workgroup_id_x 1
		.amdhsa_system_sgpr_workgroup_id_y 0
		.amdhsa_system_sgpr_workgroup_id_z 0
		.amdhsa_system_sgpr_workgroup_info 0
		.amdhsa_system_vgpr_workitem_id 0
		.amdhsa_next_free_vgpr 77
		.amdhsa_next_free_sgpr 39
		.amdhsa_reserve_vcc 1
		.amdhsa_float_round_mode_32 0
		.amdhsa_float_round_mode_16_64 0
		.amdhsa_float_denorm_mode_32 3
		.amdhsa_float_denorm_mode_16_64 3
		.amdhsa_fp16_overflow 0
		.amdhsa_workgroup_processor_mode 1
		.amdhsa_memory_ordered 1
		.amdhsa_forward_progress 0
		.amdhsa_round_robin_scheduling 0
		.amdhsa_exception_fp_ieee_invalid_op 0
		.amdhsa_exception_fp_denorm_src 0
		.amdhsa_exception_fp_ieee_div_zero 0
		.amdhsa_exception_fp_ieee_overflow 0
		.amdhsa_exception_fp_ieee_underflow 0
		.amdhsa_exception_fp_ieee_inexact 0
		.amdhsa_exception_int_div_zero 0
	.end_amdhsa_kernel
	.text
.Lfunc_end0:
	.size	fft_rtc_fwd_len672_factors_2_2_2_2_2_3_7_wgs_56_tpt_56_halfLds_half_op_CI_CI_unitstride_sbrr_R2C_dirReg, .Lfunc_end0-fft_rtc_fwd_len672_factors_2_2_2_2_2_3_7_wgs_56_tpt_56_halfLds_half_op_CI_CI_unitstride_sbrr_R2C_dirReg
                                        ; -- End function
	.section	.AMDGPU.csdata,"",@progbits
; Kernel info:
; codeLenInByte = 10168
; NumSgprs: 41
; NumVgprs: 77
; ScratchSize: 0
; MemoryBound: 0
; FloatMode: 240
; IeeeMode: 1
; LDSByteSize: 0 bytes/workgroup (compile time only)
; SGPRBlocks: 5
; VGPRBlocks: 9
; NumSGPRsForWavesPerEU: 41
; NumVGPRsForWavesPerEU: 77
; Occupancy: 16
; WaveLimiterHint : 1
; COMPUTE_PGM_RSRC2:SCRATCH_EN: 0
; COMPUTE_PGM_RSRC2:USER_SGPR: 2
; COMPUTE_PGM_RSRC2:TRAP_HANDLER: 0
; COMPUTE_PGM_RSRC2:TGID_X_EN: 1
; COMPUTE_PGM_RSRC2:TGID_Y_EN: 0
; COMPUTE_PGM_RSRC2:TGID_Z_EN: 0
; COMPUTE_PGM_RSRC2:TIDIG_COMP_CNT: 0
	.text
	.p2alignl 7, 3214868480
	.fill 96, 4, 3214868480
	.type	__hip_cuid_79796db85c76ab17,@object ; @__hip_cuid_79796db85c76ab17
	.section	.bss,"aw",@nobits
	.globl	__hip_cuid_79796db85c76ab17
__hip_cuid_79796db85c76ab17:
	.byte	0                               ; 0x0
	.size	__hip_cuid_79796db85c76ab17, 1

	.ident	"AMD clang version 19.0.0git (https://github.com/RadeonOpenCompute/llvm-project roc-6.4.0 25133 c7fe45cf4b819c5991fe208aaa96edf142730f1d)"
	.section	".note.GNU-stack","",@progbits
	.addrsig
	.addrsig_sym __hip_cuid_79796db85c76ab17
	.amdgpu_metadata
---
amdhsa.kernels:
  - .args:
      - .actual_access:  read_only
        .address_space:  global
        .offset:         0
        .size:           8
        .value_kind:     global_buffer
      - .offset:         8
        .size:           8
        .value_kind:     by_value
      - .actual_access:  read_only
        .address_space:  global
        .offset:         16
        .size:           8
        .value_kind:     global_buffer
      - .actual_access:  read_only
        .address_space:  global
        .offset:         24
        .size:           8
        .value_kind:     global_buffer
      - .actual_access:  read_only
        .address_space:  global
        .offset:         32
        .size:           8
        .value_kind:     global_buffer
      - .offset:         40
        .size:           8
        .value_kind:     by_value
      - .actual_access:  read_only
        .address_space:  global
        .offset:         48
        .size:           8
        .value_kind:     global_buffer
      - .actual_access:  read_only
        .address_space:  global
        .offset:         56
        .size:           8
        .value_kind:     global_buffer
      - .offset:         64
        .size:           4
        .value_kind:     by_value
      - .actual_access:  read_only
        .address_space:  global
        .offset:         72
        .size:           8
        .value_kind:     global_buffer
      - .actual_access:  read_only
        .address_space:  global
        .offset:         80
        .size:           8
        .value_kind:     global_buffer
      - .actual_access:  read_only
        .address_space:  global
        .offset:         88
        .size:           8
        .value_kind:     global_buffer
      - .actual_access:  write_only
        .address_space:  global
        .offset:         96
        .size:           8
        .value_kind:     global_buffer
    .group_segment_fixed_size: 0
    .kernarg_segment_align: 8
    .kernarg_segment_size: 104
    .language:       OpenCL C
    .language_version:
      - 2
      - 0
    .max_flat_workgroup_size: 56
    .name:           fft_rtc_fwd_len672_factors_2_2_2_2_2_3_7_wgs_56_tpt_56_halfLds_half_op_CI_CI_unitstride_sbrr_R2C_dirReg
    .private_segment_fixed_size: 0
    .sgpr_count:     41
    .sgpr_spill_count: 0
    .symbol:         fft_rtc_fwd_len672_factors_2_2_2_2_2_3_7_wgs_56_tpt_56_halfLds_half_op_CI_CI_unitstride_sbrr_R2C_dirReg.kd
    .uniform_work_group_size: 1
    .uses_dynamic_stack: false
    .vgpr_count:     77
    .vgpr_spill_count: 0
    .wavefront_size: 32
    .workgroup_processor_mode: 1
amdhsa.target:   amdgcn-amd-amdhsa--gfx1201
amdhsa.version:
  - 1
  - 2
...

	.end_amdgpu_metadata
